;; amdgpu-corpus repo=ROCm/rocFFT kind=compiled arch=gfx1201 opt=O3
	.text
	.amdgcn_target "amdgcn-amd-amdhsa--gfx1201"
	.amdhsa_code_object_version 6
	.protected	r2c_even_post_transpose_tile16x16_dp_CI_CI_grid1D ; -- Begin function r2c_even_post_transpose_tile16x16_dp_CI_CI_grid1D
	.globl	r2c_even_post_transpose_tile16x16_dp_CI_CI_grid1D
	.p2align	8
	.type	r2c_even_post_transpose_tile16x16_dp_CI_CI_grid1D,@function
r2c_even_post_transpose_tile16x16_dp_CI_CI_grid1D: ; @r2c_even_post_transpose_tile16x16_dp_CI_CI_grid1D
; %bb.0:
	s_clause 0x2
	s_load_b64 s[2:3], s[0:1], 0x70
	s_load_b64 s[8:9], s[0:1], 0x30
	;; [unrolled: 1-line block ×3, first 2 shown]
	s_mov_b32 s13, 0
	s_mov_b32 s12, ttmp9
	s_mov_b32 s11, s13
	s_wait_kmcnt 0x0
	s_mul_i32 s26, s3, s2
	s_cvt_f32_u32 s4, s3
	s_cvt_f32_u32 s2, s26
	s_sub_co_i32 s5, 0, s26
	s_delay_alu instid0(SALU_CYCLE_2) | instskip(NEXT) | instid1(TRANS32_DEP_1)
	v_rcp_iflag_f32_e32 v1, s2
	v_readfirstlane_b32 s2, v1
	v_rcp_iflag_f32_e32 v1, s4
	s_delay_alu instid0(VALU_DEP_1) | instskip(SKIP_1) | instid1(SALU_CYCLE_2)
	s_mul_f32 s2, s2, 0x4f7ffffe
	s_wait_alu 0xfffe
	s_cvt_u32_f32 s2, s2
	s_wait_alu 0xfffe
	s_delay_alu instid0(SALU_CYCLE_2) | instskip(SKIP_2) | instid1(TRANS32_DEP_1)
	s_mul_i32 s5, s5, s2
	s_wait_alu 0xfffe
	s_mul_hi_u32 s4, s2, s5
	v_readfirstlane_b32 s5, v1
	s_wait_alu 0xfffe
	s_add_co_i32 s2, s2, s4
	s_wait_alu 0xfffe
	s_mul_hi_u32 s2, ttmp9, s2
	s_mul_f32 s5, s5, 0x4f7ffffe
	s_wait_alu 0xfffe
	s_mul_i32 s4, s2, s26
	s_add_co_i32 s6, s2, 1
	s_wait_alu 0xfffe
	s_sub_co_i32 s4, ttmp9, s4
	s_wait_alu 0xfffe
	s_sub_co_i32 s7, s4, s26
	s_cmp_ge_u32 s4, s26
	s_cselect_b32 s2, s6, s2
	s_cselect_b32 s4, s7, s4
	s_wait_alu 0xfffe
	s_add_co_i32 s6, s2, 1
	s_cmp_ge_u32 s4, s26
	s_cvt_u32_f32 s4, s5
	s_cselect_b32 s16, s6, s2
	s_sub_co_i32 s2, 0, s3
	s_mul_i32 s6, s16, s26
	s_wait_alu 0xfffe
	s_mul_i32 s2, s2, s4
	s_mov_b32 s5, s13
	s_wait_alu 0xfffe
	s_mul_hi_u32 s2, s4, s2
	s_sub_co_i32 s10, ttmp9, s6
	s_wait_alu 0xfffe
	s_add_co_i32 s4, s4, s2
	s_cmp_eq_u64 s[14:15], 2
	s_wait_alu 0xfffe
	s_mul_u64 s[18:19], s[10:11], s[4:5]
	s_mul_u64 s[20:21], s[12:13], s[4:5]
	s_load_b128 s[4:7], s[8:9], 0x0
	s_wait_kmcnt 0x0
	s_mov_b64 s[24:25], s[6:7]
	s_cbranch_scc1 .LBB0_2
; %bb.1:
	s_load_b64 s[8:9], s[8:9], 0x10
	s_wait_kmcnt 0x0
	s_mul_u64 s[24:25], s[8:9], s[6:7]
.LBB0_2:
	s_mul_i32 s2, s19, s3
	s_add_co_i32 s8, s19, 1
	s_wait_alu 0xfffe
	s_sub_co_i32 s2, s10, s2
	v_bfe_u32 v5, v0, 10, 10
	s_wait_alu 0xfffe
	s_sub_co_i32 s9, s2, s3
	s_cmp_ge_u32 s2, s3
	v_mov_b32_e32 v3, 0
	s_cselect_b32 s8, s8, s19
	s_cselect_b32 s2, s9, s2
	s_add_co_i32 s9, s8, 1
	s_wait_alu 0xfffe
	s_cmp_ge_u32 s2, s3
	s_cselect_b32 s2, s9, s8
	s_load_b64 s[8:9], s[0:1], 0x38
	s_lshl_b32 s12, s2, 4
	s_delay_alu instid0(SALU_CYCLE_1) | instskip(SKIP_2) | instid1(VALU_DEP_1)
	v_add_co_u32 v1, s2, s12, v5
	s_wait_alu 0xf1ff
	v_add_co_ci_u32_e64 v2, null, 0, 0, s2
	v_or_b32_e32 v4, s7, v2
	s_delay_alu instid0(VALU_DEP_1)
	v_cmp_ne_u64_e32 vcc_lo, 0, v[3:4]
                                        ; implicit-def: $vgpr3_vgpr4
	s_and_saveexec_b32 s2, vcc_lo
	s_wait_alu 0xfffe
	s_xor_b32 s10, exec_lo, s2
	s_cbranch_execz .LBB0_4
; %bb.3:
	s_cvt_f32_u32 s2, s6
	s_cvt_f32_u32 s11, s7
	s_sub_nc_u64 s[22:23], 0, s[6:7]
	s_mov_b32 s31, 0
	s_wait_alu 0xfffe
	s_fmamk_f32 s2, s11, 0x4f800000, s2
	s_wait_alu 0xfffe
	s_delay_alu instid0(SALU_CYCLE_2) | instskip(NEXT) | instid1(TRANS32_DEP_1)
	v_s_rcp_f32 s2, s2
	s_mul_f32 s2, s2, 0x5f7ffffc
	s_wait_alu 0xfffe
	s_delay_alu instid0(SALU_CYCLE_2) | instskip(NEXT) | instid1(SALU_CYCLE_3)
	s_mul_f32 s11, s2, 0x2f800000
	s_trunc_f32 s11, s11
	s_delay_alu instid0(SALU_CYCLE_3) | instskip(SKIP_2) | instid1(SALU_CYCLE_1)
	s_fmamk_f32 s2, s11, 0xcf800000, s2
	s_cvt_u32_f32 s19, s11
	s_wait_alu 0xfffe
	s_cvt_u32_f32 s18, s2
	s_delay_alu instid0(SALU_CYCLE_3) | instskip(NEXT) | instid1(SALU_CYCLE_1)
	s_mul_u64 s[28:29], s[22:23], s[18:19]
	s_mul_hi_u32 s35, s18, s29
	s_mul_i32 s34, s18, s29
	s_mul_hi_u32 s30, s18, s28
	s_mul_i32 s11, s19, s28
	s_add_nc_u64 s[34:35], s[30:31], s[34:35]
	s_mul_hi_u32 s2, s19, s28
	s_mul_hi_u32 s17, s19, s29
	s_add_co_u32 s11, s34, s11
	s_wait_alu 0xfffe
	s_add_co_ci_u32 s30, s35, s2
	s_mul_i32 s28, s19, s29
	s_add_co_ci_u32 s29, s17, 0
	s_delay_alu instid0(SALU_CYCLE_1) | instskip(NEXT) | instid1(SALU_CYCLE_1)
	s_add_nc_u64 s[28:29], s[30:31], s[28:29]
	v_add_co_u32 v3, s2, s18, s28
	s_delay_alu instid0(VALU_DEP_1) | instskip(SKIP_1) | instid1(VALU_DEP_1)
	s_cmp_lg_u32 s2, 0
	s_add_co_ci_u32 s19, s19, s29
	v_readfirstlane_b32 s18, v3
	s_wait_alu 0xfffe
	s_delay_alu instid0(VALU_DEP_1) | instskip(NEXT) | instid1(SALU_CYCLE_1)
	s_mul_u64 s[22:23], s[22:23], s[18:19]
	s_mul_hi_u32 s29, s18, s23
	s_mul_i32 s28, s18, s23
	s_mul_hi_u32 s30, s18, s22
	s_mul_i32 s11, s19, s22
	s_wait_alu 0xfffe
	s_add_nc_u64 s[28:29], s[30:31], s[28:29]
	s_mul_hi_u32 s2, s19, s22
	s_mul_hi_u32 s17, s19, s23
	s_wait_alu 0xfffe
	s_add_co_u32 s11, s28, s11
	s_add_co_ci_u32 s30, s29, s2
	s_mul_i32 s22, s19, s23
	s_add_co_ci_u32 s23, s17, 0
	s_delay_alu instid0(SALU_CYCLE_1) | instskip(NEXT) | instid1(SALU_CYCLE_1)
	s_add_nc_u64 s[22:23], s[30:31], s[22:23]
	v_add_co_u32 v6, s2, v3, s22
	s_delay_alu instid0(VALU_DEP_1) | instskip(SKIP_1) | instid1(VALU_DEP_1)
	s_cmp_lg_u32 s2, 0
	s_add_co_ci_u32 s2, s19, s23
	v_mul_hi_u32 v10, v1, v6
	s_wait_alu 0xfffe
	v_mad_co_u64_u32 v[3:4], null, v1, s2, 0
	v_mad_co_u64_u32 v[6:7], null, v2, v6, 0
	;; [unrolled: 1-line block ×3, first 2 shown]
	s_delay_alu instid0(VALU_DEP_3) | instskip(NEXT) | instid1(VALU_DEP_4)
	v_add_co_u32 v3, vcc_lo, v10, v3
	v_add_co_ci_u32_e32 v4, vcc_lo, 0, v4, vcc_lo
	s_delay_alu instid0(VALU_DEP_2) | instskip(SKIP_1) | instid1(VALU_DEP_2)
	v_add_co_u32 v3, vcc_lo, v3, v6
	s_wait_alu 0xfffd
	v_add_co_ci_u32_e32 v3, vcc_lo, v4, v7, vcc_lo
	s_wait_alu 0xfffd
	v_add_co_ci_u32_e32 v4, vcc_lo, 0, v9, vcc_lo
	s_delay_alu instid0(VALU_DEP_2) | instskip(SKIP_1) | instid1(VALU_DEP_2)
	v_add_co_u32 v6, vcc_lo, v3, v8
	s_wait_alu 0xfffd
	v_add_co_ci_u32_e32 v7, vcc_lo, 0, v4, vcc_lo
	s_delay_alu instid0(VALU_DEP_2) | instskip(SKIP_1) | instid1(VALU_DEP_3)
	v_mul_lo_u32 v8, s7, v6
	v_mad_co_u64_u32 v[3:4], null, s6, v6, 0
	v_mul_lo_u32 v9, s6, v7
	s_delay_alu instid0(VALU_DEP_2) | instskip(NEXT) | instid1(VALU_DEP_2)
	v_sub_co_u32 v3, vcc_lo, v1, v3
	v_add3_u32 v4, v4, v9, v8
	s_delay_alu instid0(VALU_DEP_1) | instskip(SKIP_1) | instid1(VALU_DEP_1)
	v_sub_nc_u32_e32 v8, v2, v4
	s_wait_alu 0xfffd
	v_subrev_co_ci_u32_e64 v8, s2, s7, v8, vcc_lo
	v_add_co_u32 v9, s2, v6, 2
	s_wait_alu 0xf1ff
	v_add_co_ci_u32_e64 v10, s2, 0, v7, s2
	v_sub_co_u32 v11, s2, v3, s6
	v_sub_co_ci_u32_e32 v4, vcc_lo, v2, v4, vcc_lo
	s_wait_alu 0xf1ff
	v_subrev_co_ci_u32_e64 v8, s2, 0, v8, s2
	s_delay_alu instid0(VALU_DEP_3) | instskip(NEXT) | instid1(VALU_DEP_3)
	v_cmp_le_u32_e32 vcc_lo, s6, v11
	v_cmp_eq_u32_e64 s2, s7, v4
	s_wait_alu 0xfffd
	v_cndmask_b32_e64 v11, 0, -1, vcc_lo
	v_cmp_le_u32_e32 vcc_lo, s7, v8
	s_wait_alu 0xfffd
	v_cndmask_b32_e64 v12, 0, -1, vcc_lo
	v_cmp_le_u32_e32 vcc_lo, s6, v3
	s_wait_alu 0xfffd
	v_cndmask_b32_e64 v3, 0, -1, vcc_lo
	v_cmp_le_u32_e32 vcc_lo, s7, v4
	s_wait_alu 0xfffd
	v_cndmask_b32_e64 v13, 0, -1, vcc_lo
	v_cmp_eq_u32_e32 vcc_lo, s7, v8
	s_wait_alu 0xf1ff
	s_delay_alu instid0(VALU_DEP_2)
	v_cndmask_b32_e64 v3, v13, v3, s2
	s_wait_alu 0xfffd
	v_cndmask_b32_e32 v8, v12, v11, vcc_lo
	v_add_co_u32 v11, vcc_lo, v6, 1
	s_wait_alu 0xfffd
	v_add_co_ci_u32_e32 v12, vcc_lo, 0, v7, vcc_lo
	s_delay_alu instid0(VALU_DEP_3) | instskip(SKIP_2) | instid1(VALU_DEP_3)
	v_cmp_ne_u32_e32 vcc_lo, 0, v8
	s_wait_alu 0xfffd
	v_cndmask_b32_e32 v8, v11, v9, vcc_lo
	v_cndmask_b32_e32 v4, v12, v10, vcc_lo
	v_cmp_ne_u32_e32 vcc_lo, 0, v3
	s_wait_alu 0xfffd
	s_delay_alu instid0(VALU_DEP_3) | instskip(NEXT) | instid1(VALU_DEP_3)
	v_cndmask_b32_e32 v3, v6, v8, vcc_lo
	v_cndmask_b32_e32 v4, v7, v4, vcc_lo
.LBB0_4:
	s_and_not1_saveexec_b32 s2, s10
	s_cbranch_execz .LBB0_6
; %bb.5:
	v_cvt_f32_u32_e32 v3, s6
	s_sub_co_i32 s10, 0, s6
	s_delay_alu instid0(VALU_DEP_1) | instskip(NEXT) | instid1(TRANS32_DEP_1)
	v_rcp_iflag_f32_e32 v3, v3
	v_mul_f32_e32 v3, 0x4f7ffffe, v3
	s_delay_alu instid0(VALU_DEP_1) | instskip(NEXT) | instid1(VALU_DEP_1)
	v_cvt_u32_f32_e32 v3, v3
	v_mul_lo_u32 v4, s10, v3
	s_delay_alu instid0(VALU_DEP_1) | instskip(NEXT) | instid1(VALU_DEP_1)
	v_mul_hi_u32 v4, v3, v4
	v_add_nc_u32_e32 v3, v3, v4
	s_delay_alu instid0(VALU_DEP_1) | instskip(NEXT) | instid1(VALU_DEP_1)
	v_mul_hi_u32 v3, v1, v3
	v_mul_lo_u32 v4, v3, s6
	v_add_nc_u32_e32 v6, 1, v3
	s_delay_alu instid0(VALU_DEP_2) | instskip(NEXT) | instid1(VALU_DEP_1)
	v_sub_nc_u32_e32 v4, v1, v4
	v_subrev_nc_u32_e32 v7, s6, v4
	v_cmp_le_u32_e32 vcc_lo, s6, v4
	s_wait_alu 0xfffd
	s_delay_alu instid0(VALU_DEP_2) | instskip(NEXT) | instid1(VALU_DEP_1)
	v_dual_cndmask_b32 v4, v4, v7 :: v_dual_cndmask_b32 v3, v3, v6
	v_cmp_le_u32_e32 vcc_lo, s6, v4
	s_delay_alu instid0(VALU_DEP_2) | instskip(SKIP_1) | instid1(VALU_DEP_1)
	v_add_nc_u32_e32 v6, 1, v3
	s_wait_alu 0xfffd
	v_dual_mov_b32 v4, 0 :: v_dual_cndmask_b32 v3, v3, v6
.LBB0_6:
	s_wait_alu 0xfffe
	s_or_b32 exec_lo, exec_lo, s2
	s_wait_kmcnt 0x0
	s_load_b64 s[10:11], s[8:9], 0x8
	v_mul_lo_u32 v8, v4, s6
	v_mul_lo_u32 v9, v3, s7
	v_mad_co_u64_u32 v[6:7], null, v3, s6, 0
	v_cmp_lt_u64_e64 s2, s[14:15], 3
	s_delay_alu instid0(VALU_DEP_2) | instskip(NEXT) | instid1(VALU_DEP_3)
	v_add3_u32 v7, v7, v9, v8
	v_sub_co_u32 v6, vcc_lo, v1, v6
	s_wait_alu 0xfffd
	s_delay_alu instid0(VALU_DEP_2) | instskip(NEXT) | instid1(VALU_DEP_4)
	v_sub_co_ci_u32_e32 v7, vcc_lo, v2, v7, vcc_lo
	s_and_b32 vcc_lo, exec_lo, s2
	s_wait_kmcnt 0x0
	v_mul_lo_u32 v10, s11, v6
	s_delay_alu instid0(VALU_DEP_2) | instskip(SKIP_1) | instid1(VALU_DEP_1)
	v_mul_lo_u32 v7, s10, v7
	v_mad_co_u64_u32 v[8:9], null, s10, v6, 0
	v_add3_u32 v9, v9, v7, v10
	s_wait_alu 0xfffe
	s_cbranch_vccnz .LBB0_8
; %bb.7:
	s_load_b64 s[6:7], s[8:9], 0x10
	s_wait_kmcnt 0x0
	s_delay_alu instid0(VALU_DEP_2) | instskip(SKIP_2) | instid1(VALU_DEP_1)
	v_mad_co_u64_u32 v[8:9], null, s6, v3, v[8:9]
	v_mul_lo_u32 v4, s6, v4
	v_mul_lo_u32 v3, s7, v3
	v_add3_u32 v9, v3, v9, v4
.LBB0_8:
	s_add_nc_u64 s[6:7], s[4:5], -1
	s_mov_b32 s17, 0
	s_wait_alu 0xfffe
	v_cmp_lt_u64_e64 s2, s[6:7], 32
	s_lshr_b64 s[6:7], s[6:7], 1
	s_add_nc_u64 s[22:23], s[4:5], 1
	s_add_nc_u64 s[30:31], s[12:13], 16
	s_load_b128 s[8:11], s[0:1], 0x8
	s_mul_i32 s27, s21, s3
	s_and_b32 s2, s2, exec_lo
	s_cselect_b32 s29, s7, 0
	s_cselect_b32 s28, s6, 16
	s_lshr_b64 s[22:23], s[22:23], 1
	s_wait_alu 0xfffe
	s_mul_u64 s[18:19], s[28:29], s[16:17]
	v_cmp_lt_u64_e64 s2, s[30:31], s[24:25]
	s_wait_alu 0xfffe
	s_add_nc_u64 s[6:7], s[18:19], 1
	v_dual_mov_b32 v13, 0 :: v_dual_and_b32 v12, 0x3ff, v0
	s_wait_alu 0xfffe
	s_add_nc_u64 s[34:35], s[6:7], s[28:29]
	s_sub_nc_u64 s[20:21], s[22:23], s[6:7]
	v_cmp_lt_u64_e64 s16, s[34:35], s[22:23]
	s_and_b32 s2, s2, exec_lo
	s_cselect_b32 s25, s31, s25
	s_cselect_b32 s24, s30, s24
	v_lshlrev_b32_e32 v14, 4, v5
	s_delay_alu instid0(VALU_DEP_2)
	s_and_b32 s2, s16, exec_lo
	s_cselect_b32 s21, s29, s21
	s_cselect_b32 s20, s28, s20
	s_sub_co_i32 s2, ttmp9, s27
	v_cmp_gt_u64_e32 vcc_lo, s[20:21], v[12:13]
	s_wait_alu 0xfffe
	s_sub_co_i32 s16, s2, s3
	s_cmp_ge_u32 s2, s3
	s_cselect_b32 s16, s16, s2
	v_cmp_gt_u64_e64 s2, s[24:25], v[1:2]
	s_sub_co_i32 s24, s16, s3
	s_cmp_ge_u32 s16, s3
	s_wait_alu 0xfffe
	s_cselect_b32 s16, s24, s16
	s_wait_kmcnt 0x0
	s_mul_u64 s[10:11], s[16:17], s[10:11]
	s_and_b32 s28, s2, vcc_lo
	s_wait_alu 0xfffe
	s_and_saveexec_b32 s3, s28
	s_cbranch_execz .LBB0_10
; %bb.9:
	v_lshlrev_b64_e32 v[0:1], 4, v[8:9]
	s_lshl_b64 s[24:25], s[10:11], 4
	s_lshl_b64 s[30:31], s[18:19], 4
	s_wait_alu 0xfffe
	s_add_nc_u64 s[24:25], s[24:25], s[8:9]
	v_lshl_add_u32 v10, v12, 8, v14
	s_wait_alu 0xfffe
	v_add_co_u32 v2, vcc_lo, s24, v0
	s_wait_alu 0xfffd
	v_add_co_ci_u32_e32 v3, vcc_lo, s25, v1, vcc_lo
	s_add_nc_u64 s[24:25], s[18:19], s[20:21]
	s_delay_alu instid0(VALU_DEP_2)
	v_add_co_u32 v4, vcc_lo, v2, s30
	s_wait_alu 0xfffe
	s_sub_nc_u64 s[24:25], s[4:5], s[24:25]
	v_lshlrev_b64_e32 v[0:1], 4, v[12:13]
	s_wait_alu 0xfffe
	s_lshl_b64 s[24:25], s[24:25], 4
	s_wait_alu 0xfffd
	v_add_co_ci_u32_e32 v5, vcc_lo, s31, v3, vcc_lo
	s_wait_alu 0xfffe
	v_add_co_u32 v6, vcc_lo, v2, s24
	s_wait_alu 0xfffd
	v_add_co_ci_u32_e32 v7, vcc_lo, s25, v3, vcc_lo
	v_add_co_u32 v2, vcc_lo, v4, v0
	s_wait_alu 0xfffd
	v_add_co_ci_u32_e32 v3, vcc_lo, v5, v1, vcc_lo
	;; [unrolled: 3-line block ×3, first 2 shown]
	s_clause 0x1
	global_load_b128 v[0:3], v[2:3], off offset:16
	global_load_b128 v[4:7], v[4:5], off
	s_wait_loadcnt 0x1
	ds_store_b128 v10, v[0:3]
	s_wait_loadcnt 0x0
	ds_store_b128 v10, v[4:7] offset:4096
.LBB0_10:
	s_wait_alu 0xfffe
	s_or_b32 exec_lo, exec_lo, s3
	v_cmp_eq_u32_e64 s3, 0, v12
	s_cmp_gt_u32 s26, ttmp9
                                        ; implicit-def: $vgpr0_vgpr1
                                        ; implicit-def: $vgpr4_vgpr5
	s_cselect_b32 s21, -1, 0
	s_wait_alu 0xfffe
	s_delay_alu instid0(VALU_DEP_1)
	s_and_b32 s25, s3, s21
	s_wait_alu 0xfffe
	s_and_saveexec_b32 s24, s25
	s_cbranch_execz .LBB0_16
; %bb.11:
                                        ; implicit-def: $vgpr6_vgpr7
                                        ; implicit-def: $vgpr2_vgpr3
	s_and_saveexec_b32 s25, s2
	s_cbranch_execz .LBB0_15
; %bb.12:
	v_lshlrev_b64_e32 v[0:1], 4, v[8:9]
	s_lshl_b64 s[10:11], s[10:11], 4
	s_bitcmp1_b32 s4, 0
	s_wait_alu 0xfffe
	s_add_nc_u64 s[8:9], s[10:11], s[8:9]
	s_delay_alu instid0(VALU_DEP_1) | instid1(SALU_CYCLE_1)
	v_add_co_u32 v0, vcc_lo, s8, v0
	s_wait_alu 0xfffd
	v_add_co_ci_u32_e32 v1, vcc_lo, s9, v1, vcc_lo
	s_cselect_b32 s8, -1, 0
	s_wait_alu 0xfffe
	s_and_b32 vcc_lo, exec_lo, s8
	global_load_b128 v[4:7], v[0:1], off
	s_wait_alu 0xfffe
	s_cbranch_vccnz .LBB0_14
; %bb.13:
	s_lshl_b64 s[8:9], s[4:5], 3
	s_wait_alu 0xfffe
	v_add_co_u32 v0, vcc_lo, v0, s8
	s_wait_alu 0xfffd
	v_add_co_ci_u32_e32 v1, vcc_lo, s9, v1, vcc_lo
	global_load_b128 v[0:3], v[0:1], off
	s_branch .LBB0_15
.LBB0_14:
                                        ; implicit-def: $vgpr2_vgpr3
.LBB0_15:
	s_wait_alu 0xfffe
	s_or_b32 exec_lo, exec_lo, s25
.LBB0_16:
	s_wait_alu 0xfffe
	s_or_b32 exec_lo, exec_lo, s24
	s_clause 0x2
	s_load_b128 s[8:11], s[0:1], 0x18
	s_load_b64 s[24:25], s[0:1], 0x28
	s_load_b64 s[0:1], s[0:1], 0x40
	s_and_b32 s26, s3, s2
	global_wb scope:SCOPE_SE
	s_wait_loadcnt_dscnt 0x0
	s_wait_kmcnt 0x0
	s_barrier_signal -1
	s_barrier_wait -1
	global_inv scope:SCOPE_SE
	s_mul_u64 s[2:3], s[16:17], s[10:11]
	s_and_b32 s10, s21, s26
	s_wait_alu 0xfffe
	s_and_saveexec_b32 s21, s10
	s_cbranch_execz .LBB0_35
; %bb.17:
	v_cmp_lt_i64_e64 s10, s[14:15], 3
	s_delay_alu instid0(VALU_DEP_1)
	s_and_b32 vcc_lo, exec_lo, s10
	s_wait_alu 0xfffe
	s_cbranch_vccnz .LBB0_21
; %bb.18:
	s_mov_b32 s27, 0
	s_cmp_eq_u64 s[14:15], 3
	s_mov_b32 s26, 0
                                        ; implicit-def: $sgpr16_sgpr17
	s_cbranch_scc0 .LBB0_20
; %bb.19:
	s_mov_b32 s26, -1
	s_mov_b64 s[16:17], 16
.LBB0_20:
	s_mov_b64 s[10:11], 0
	s_and_b32 vcc_lo, exec_lo, s27
	s_wait_alu 0xfffe
	s_cbranch_vccnz .LBB0_22
	s_branch .LBB0_23
.LBB0_21:
	s_mov_b32 s26, 0
                                        ; implicit-def: $sgpr16_sgpr17
                                        ; implicit-def: $sgpr10_sgpr11
	s_cbranch_execz .LBB0_23
.LBB0_22:
	s_cmp_eq_u64 s[14:15], 2
	s_mov_b64 s[10:11], 0
	s_mov_b64 s[16:17], 8
	s_cselect_b32 s26, -1, 0
.LBB0_23:
	s_delay_alu instid0(SALU_CYCLE_1)
	s_and_not1_b32 vcc_lo, exec_lo, s26
	s_wait_alu 0xfffe
	s_cbranch_vccnz .LBB0_25
; %bb.24:
	s_add_nc_u64 s[10:11], s[0:1], s[16:17]
	s_load_b64 s[10:11], s[10:11], 0x0
	s_wait_kmcnt 0x0
	s_mul_u64 s[10:11], s[10:11], s[4:5]
	s_wait_alu 0xfffe
	s_add_nc_u64 s[10:11], s[10:11], s[2:3]
.LBB0_25:
	v_add_f64_e64 v[8:9], v[4:5], -v[6:7]
	v_mov_b32_e32 v10, 0
	s_wait_alu 0xfffe
	s_lshl_b64 s[16:17], s[10:11], 4
	s_lshl_b64 s[10:11], s[12:13], 4
	s_add_nc_u64 s[16:17], s[8:9], s[16:17]
	s_mov_b32 s29, 0
	v_mov_b32_e32 v11, v10
	s_wait_alu 0xfffe
	s_add_nc_u64 s[16:17], s[16:17], s[10:11]
	global_store_b128 v14, v[8:11], s[16:17]
	v_add_f64_e32 v[8:9], v[4:5], v[6:7]
	s_and_b32 s16, s14, -2
	s_mov_b32 s17, s15
	s_delay_alu instid0(SALU_CYCLE_1) | instskip(SKIP_2) | instid1(SALU_CYCLE_1)
	s_cmp_eq_u64 s[16:17], 2
	s_cselect_b32 s17, s3, 0
	s_cselect_b32 s16, s2, 0
	s_lshl_b64 s[16:17], s[16:17], 4
	s_bitcmp1_b32 s4, 0
	s_add_nc_u64 s[16:17], s[8:9], s[16:17]
	s_cselect_b32 s26, -1, 0
	s_add_nc_u64 s[16:17], s[16:17], s[10:11]
	s_and_b32 vcc_lo, exec_lo, s26
	global_store_b128 v14, v[8:11], s[16:17]
	s_wait_alu 0xfffe
	s_cbranch_vccnz .LBB0_35
; %bb.26:
	v_cmp_lt_i64_e64 s16, s[14:15], 3
	s_delay_alu instid0(VALU_DEP_1)
	s_and_b32 vcc_lo, exec_lo, s16
	s_wait_alu 0xfffe
	s_cbranch_vccnz .LBB0_30
; %bb.27:
	s_mov_b32 s30, 0
	s_cmp_eq_u64 s[14:15], 3
                                        ; implicit-def: $sgpr16_sgpr17
	s_cbranch_scc0 .LBB0_29
; %bb.28:
	s_mov_b32 s29, -1
	s_mov_b64 s[16:17], 16
.LBB0_29:
	s_mov_b64 s[26:27], 0
	s_wait_alu 0xfffe
	s_and_b32 vcc_lo, exec_lo, s30
	s_wait_alu 0xfffe
	s_cbranch_vccnz .LBB0_31
	s_branch .LBB0_32
.LBB0_30:
                                        ; implicit-def: $sgpr16_sgpr17
                                        ; implicit-def: $sgpr26_sgpr27
	s_cbranch_execz .LBB0_32
.LBB0_31:
	s_cmp_eq_u64 s[14:15], 2
	s_mov_b64 s[26:27], 0
	s_mov_b64 s[16:17], 8
	s_cselect_b32 s29, -1, 0
.LBB0_32:
	s_wait_alu 0xfffe
	s_and_not1_b32 vcc_lo, exec_lo, s29
	s_wait_alu 0xfffe
	s_cbranch_vccnz .LBB0_34
; %bb.33:
	s_add_nc_u64 s[16:17], s[0:1], s[16:17]
	s_load_b64 s[16:17], s[16:17], 0x0
	s_wait_kmcnt 0x0
	s_mul_u64 s[16:17], s[16:17], s[22:23]
	s_delay_alu instid0(SALU_CYCLE_1)
	s_add_nc_u64 s[26:27], s[16:17], s[2:3]
.LBB0_34:
	s_delay_alu instid0(SALU_CYCLE_1) | instskip(SKIP_2) | instid1(SALU_CYCLE_1)
	s_lshl_b64 s[16:17], s[26:27], 4
	v_xor_b32_e32 v3, 0x80000000, v3
	s_add_nc_u64 s[16:17], s[8:9], s[16:17]
	s_add_nc_u64 s[10:11], s[16:17], s[10:11]
	global_store_b128 v14, v[0:3], s[10:11]
.LBB0_35:
	s_wait_alu 0xfffe
	s_or_b32 exec_lo, exec_lo, s21
	s_and_saveexec_b32 s10, s28
	s_cbranch_execz .LBB0_53
; %bb.36:
	v_add_co_u32 v0, s10, s18, v12
	s_wait_alu 0xf1fe
	v_add_co_ci_u32_e64 v1, null, s19, 0, s10
	v_xad_u32 v4, v12, -1, s20
	v_lshl_add_u32 v5, v12, 8, v14
	v_cmp_lt_i64_e64 s10, s[14:15], 3
	s_delay_alu instid0(VALU_DEP_4) | instskip(SKIP_2) | instid1(VALU_DEP_2)
	v_lshlrev_b64_e32 v[0:1], 4, v[0:1]
	s_mov_b32 s19, -1
	v_lshl_add_u32 v8, v4, 8, v14
	v_add_co_u32 v0, vcc_lo, s24, v0
	s_wait_alu 0xfffd
	s_delay_alu instid0(VALU_DEP_3)
	v_add_co_ci_u32_e32 v1, vcc_lo, s25, v1, vcc_lo
	s_and_b32 vcc_lo, exec_lo, s10
	global_load_b128 v[0:3], v[0:1], off offset:16
	ds_load_b128 v[4:7], v5
	ds_load_b128 v[8:11], v8 offset:4096
	s_wait_alu 0xfffe
	s_cbranch_vccnz .LBB0_40
; %bb.37:
	s_mov_b32 s19, 0
	s_cmp_eq_u64 s[14:15], 3
	s_mov_b32 s18, 0
                                        ; implicit-def: $sgpr10_sgpr11
	s_cbranch_scc0 .LBB0_39
; %bb.38:
	s_mov_b32 s18, -1
	s_mov_b64 s[10:11], 16
.LBB0_39:
	s_mov_b64 s[16:17], 0
	v_add_co_u32 v15, s6, s6, v12
	s_wait_alu 0xf1ff
	v_add_co_ci_u32_e64 v16, null, s7, 0, s6
	s_wait_alu 0xfffe
	s_and_b32 vcc_lo, exec_lo, s19
	s_wait_alu 0xfffe
	s_cbranch_vccnz .LBB0_41
	s_branch .LBB0_42
.LBB0_40:
	s_mov_b32 s18, 0
                                        ; implicit-def: $sgpr10_sgpr11
                                        ; implicit-def: $sgpr16_sgpr17
	v_add_co_u32 v15, s6, s6, v12
	s_wait_alu 0xf1ff
	v_add_co_ci_u32_e64 v16, null, s7, 0, s6
	s_and_b32 vcc_lo, exec_lo, s19
	s_wait_alu 0xfffe
	s_cbranch_vccz .LBB0_42
.LBB0_41:
	s_cmp_eq_u64 s[14:15], 2
	s_mov_b64 s[16:17], 0
	s_mov_b64 s[10:11], 8
	s_cselect_b32 s18, -1, 0
.LBB0_42:
	v_dual_mov_b32 v12, s16 :: v_dual_mov_b32 v13, s17
	s_wait_alu 0xfffe
	s_and_not1_b32 vcc_lo, exec_lo, s18
	s_wait_alu 0xfffe
	s_cbranch_vccnz .LBB0_44
; %bb.43:
	s_add_nc_u64 s[6:7], s[0:1], s[10:11]
	s_load_b64 s[6:7], s[6:7], 0x0
	s_wait_kmcnt 0x0
	v_mul_lo_u32 v17, s6, v16
	v_mul_lo_u32 v18, s7, v15
	v_mad_co_u64_u32 v[12:13], null, s6, v15, s[2:3]
	s_delay_alu instid0(VALU_DEP_1)
	v_add3_u32 v13, v18, v13, v17
.LBB0_44:
	s_wait_dscnt 0x0
	v_add_f64_e64 v[17:18], v[4:5], -v[8:9]
	v_add_f64_e32 v[19:20], v[6:7], v[10:11]
	v_add_f64_e32 v[8:9], v[4:5], v[8:9]
	v_add_f64_e64 v[6:7], v[6:7], -v[10:11]
	v_lshlrev_b64_e32 v[12:13], 4, v[12:13]
	s_lshl_b64 s[6:7], s[12:13], 4
	s_wait_alu 0xfffe
	s_add_nc_u64 s[6:7], s[6:7], s[8:9]
	v_cmp_lt_i64_e64 s8, s[14:15], 3
	s_wait_alu 0xfffe
	v_add_co_u32 v12, vcc_lo, s6, v12
	s_wait_alu 0xfffd
	v_add_co_ci_u32_e32 v13, vcc_lo, s7, v13, vcc_lo
	s_delay_alu instid0(VALU_DEP_2) | instskip(SKIP_1) | instid1(VALU_DEP_2)
	v_add_co_u32 v12, vcc_lo, v12, v14
	s_wait_alu 0xfffd
	v_add_co_ci_u32_e32 v13, vcc_lo, 0, v13, vcc_lo
	s_and_b32 vcc_lo, exec_lo, s8
	v_mul_f64_e32 v[21:22], 0.5, v[17:18]
	v_mul_f64_e32 v[17:18], 0.5, v[19:20]
	;; [unrolled: 1-line block ×3, first 2 shown]
	s_wait_loadcnt 0x0
	s_delay_alu instid0(VALU_DEP_3) | instskip(NEXT) | instid1(VALU_DEP_3)
	v_mul_f64_e32 v[4:5], v[21:22], v[2:3]
	v_mul_f64_e32 v[2:3], v[17:18], v[2:3]
	s_delay_alu instid0(VALU_DEP_2) | instskip(NEXT) | instid1(VALU_DEP_2)
	v_fma_f64 v[19:20], v[8:9], 0.5, v[4:5]
	v_fma_f64 v[23:24], v[6:7], 0.5, v[2:3]
	v_mul_f64_e32 v[6:7], 0.5, v[6:7]
	v_mul_f64_e32 v[8:9], v[0:1], v[17:18]
	s_delay_alu instid0(VALU_DEP_4) | instskip(NEXT) | instid1(VALU_DEP_4)
	v_fma_f64 v[17:18], v[0:1], v[17:18], v[19:20]
	v_fma_f64 v[19:20], -v[21:22], v[0:1], v[23:24]
	v_mul_f64_e32 v[0:1], v[21:22], v[0:1]
	global_store_b128 v[12:13], v[17:20], off
	s_wait_alu 0xfffe
	s_cbranch_vccnz .LBB0_48
; %bb.45:
	s_cmp_eq_u64 s[14:15], 3
	s_mov_b32 s12, 0
                                        ; implicit-def: $sgpr8_sgpr9
	s_cbranch_scc0 .LBB0_47
; %bb.46:
	s_mov_b32 s12, -1
	s_mov_b64 s[8:9], 16
.LBB0_47:
	s_mov_b64 s[10:11], 0
	s_and_b32 vcc_lo, exec_lo, s13
	s_wait_alu 0xfffe
	s_cbranch_vccnz .LBB0_49
	s_branch .LBB0_50
.LBB0_48:
	s_mov_b32 s12, 0
                                        ; implicit-def: $sgpr8_sgpr9
                                        ; implicit-def: $sgpr10_sgpr11
	s_cbranch_execz .LBB0_50
.LBB0_49:
	s_cmp_eq_u64 s[14:15], 2
	s_mov_b64 s[10:11], 0
	s_mov_b64 s[8:9], 8
	s_cselect_b32 s12, -1, 0
.LBB0_50:
	s_wait_alu 0xfffe
	v_dual_mov_b32 v13, s11 :: v_dual_mov_b32 v12, s10
	s_and_not1_b32 vcc_lo, exec_lo, s12
	s_wait_alu 0xfffe
	s_cbranch_vccnz .LBB0_52
; %bb.51:
	s_add_nc_u64 s[0:1], s[0:1], s[8:9]
	v_sub_co_u32 v12, vcc_lo, s4, v15
	s_load_b64 s[0:1], s[0:1], 0x0
	v_sub_co_ci_u32_e32 v13, vcc_lo, s5, v16, vcc_lo
	s_wait_kmcnt 0x0
	s_delay_alu instid0(VALU_DEP_1) | instskip(SKIP_2) | instid1(VALU_DEP_1)
	v_mul_lo_u32 v15, s0, v13
	v_mul_lo_u32 v16, s1, v12
	v_mad_co_u64_u32 v[12:13], null, s0, v12, s[2:3]
	v_add3_u32 v13, v16, v13, v15
.LBB0_52:
	v_add_f64_e64 v[4:5], v[10:11], -v[4:5]
	v_add_f64_e64 v[6:7], v[2:3], -v[6:7]
	s_delay_alu instid0(VALU_DEP_2) | instskip(NEXT) | instid1(VALU_DEP_2)
	v_add_f64_e64 v[2:3], v[4:5], -v[8:9]
	v_add_f64_e64 v[4:5], v[6:7], -v[0:1]
	v_lshlrev_b64_e32 v[0:1], 4, v[12:13]
	s_delay_alu instid0(VALU_DEP_1) | instskip(SKIP_1) | instid1(VALU_DEP_2)
	v_add_co_u32 v0, vcc_lo, s6, v0
	s_wait_alu 0xfffd
	v_add_co_ci_u32_e32 v1, vcc_lo, s7, v1, vcc_lo
	s_delay_alu instid0(VALU_DEP_2) | instskip(SKIP_1) | instid1(VALU_DEP_2)
	v_add_co_u32 v0, vcc_lo, v0, v14
	s_wait_alu 0xfffd
	v_add_co_ci_u32_e32 v1, vcc_lo, 0, v1, vcc_lo
	global_store_b128 v[0:1], v[2:5], off
.LBB0_53:
	s_nop 0
	s_sendmsg sendmsg(MSG_DEALLOC_VGPRS)
	s_endpgm
	.section	.rodata,"a",@progbits
	.p2align	6, 0x0
	.amdhsa_kernel r2c_even_post_transpose_tile16x16_dp_CI_CI_grid1D
		.amdhsa_group_segment_fixed_size 8192
		.amdhsa_private_segment_fixed_size 0
		.amdhsa_kernarg_size 120
		.amdhsa_user_sgpr_count 2
		.amdhsa_user_sgpr_dispatch_ptr 0
		.amdhsa_user_sgpr_queue_ptr 0
		.amdhsa_user_sgpr_kernarg_segment_ptr 1
		.amdhsa_user_sgpr_dispatch_id 0
		.amdhsa_user_sgpr_private_segment_size 0
		.amdhsa_wavefront_size32 1
		.amdhsa_uses_dynamic_stack 0
		.amdhsa_enable_private_segment 0
		.amdhsa_system_sgpr_workgroup_id_x 1
		.amdhsa_system_sgpr_workgroup_id_y 0
		.amdhsa_system_sgpr_workgroup_id_z 0
		.amdhsa_system_sgpr_workgroup_info 0
		.amdhsa_system_vgpr_workitem_id 1
		.amdhsa_next_free_vgpr 25
		.amdhsa_next_free_sgpr 36
		.amdhsa_reserve_vcc 1
		.amdhsa_float_round_mode_32 0
		.amdhsa_float_round_mode_16_64 0
		.amdhsa_float_denorm_mode_32 3
		.amdhsa_float_denorm_mode_16_64 3
		.amdhsa_fp16_overflow 0
		.amdhsa_workgroup_processor_mode 1
		.amdhsa_memory_ordered 1
		.amdhsa_forward_progress 0
		.amdhsa_round_robin_scheduling 0
		.amdhsa_exception_fp_ieee_invalid_op 0
		.amdhsa_exception_fp_denorm_src 0
		.amdhsa_exception_fp_ieee_div_zero 0
		.amdhsa_exception_fp_ieee_overflow 0
		.amdhsa_exception_fp_ieee_underflow 0
		.amdhsa_exception_fp_ieee_inexact 0
		.amdhsa_exception_int_div_zero 0
	.end_amdhsa_kernel
	.text
.Lfunc_end0:
	.size	r2c_even_post_transpose_tile16x16_dp_CI_CI_grid1D, .Lfunc_end0-r2c_even_post_transpose_tile16x16_dp_CI_CI_grid1D
                                        ; -- End function
	.section	.AMDGPU.csdata,"",@progbits
; Kernel info:
; codeLenInByte = 3312
; NumSgprs: 38
; NumVgprs: 25
; ScratchSize: 0
; MemoryBound: 1
; FloatMode: 240
; IeeeMode: 1
; LDSByteSize: 8192 bytes/workgroup (compile time only)
; SGPRBlocks: 4
; VGPRBlocks: 3
; NumSGPRsForWavesPerEU: 38
; NumVGPRsForWavesPerEU: 25
; Occupancy: 16
; WaveLimiterHint : 1
; COMPUTE_PGM_RSRC2:SCRATCH_EN: 0
; COMPUTE_PGM_RSRC2:USER_SGPR: 2
; COMPUTE_PGM_RSRC2:TRAP_HANDLER: 0
; COMPUTE_PGM_RSRC2:TGID_X_EN: 1
; COMPUTE_PGM_RSRC2:TGID_Y_EN: 0
; COMPUTE_PGM_RSRC2:TGID_Z_EN: 0
; COMPUTE_PGM_RSRC2:TIDIG_COMP_CNT: 1
	.text
	.p2alignl 7, 3214868480
	.fill 96, 4, 3214868480
	.type	__hip_cuid_145d37aa92261dbe,@object ; @__hip_cuid_145d37aa92261dbe
	.section	.bss,"aw",@nobits
	.globl	__hip_cuid_145d37aa92261dbe
__hip_cuid_145d37aa92261dbe:
	.byte	0                               ; 0x0
	.size	__hip_cuid_145d37aa92261dbe, 1

	.ident	"AMD clang version 19.0.0git (https://github.com/RadeonOpenCompute/llvm-project roc-6.4.0 25133 c7fe45cf4b819c5991fe208aaa96edf142730f1d)"
	.section	".note.GNU-stack","",@progbits
	.addrsig
	.addrsig_sym __hip_cuid_145d37aa92261dbe
	.amdgpu_metadata
---
amdhsa.kernels:
  - .args:
      - .offset:         0
        .size:           8
        .value_kind:     by_value
      - .actual_access:  read_only
        .address_space:  global
        .offset:         8
        .size:           8
        .value_kind:     global_buffer
      - .offset:         16
        .size:           8
        .value_kind:     by_value
      - .actual_access:  write_only
        .address_space:  global
        .offset:         24
        .size:           8
        .value_kind:     global_buffer
      - .offset:         32
        .size:           8
        .value_kind:     by_value
      - .actual_access:  read_only
        .address_space:  global
        .offset:         40
        .size:           8
        .value_kind:     global_buffer
      - .actual_access:  read_only
        .address_space:  global
        .offset:         48
        .size:           8
        .value_kind:     global_buffer
      - .actual_access:  read_only
        .address_space:  global
        .offset:         56
        .size:           8
        .value_kind:     global_buffer
      - .actual_access:  read_only
        .address_space:  global
        .offset:         64
        .size:           8
        .value_kind:     global_buffer
      - .actual_access:  read_only
        .address_space:  global
        .offset:         72
        .size:           8
        .value_kind:     global_buffer
      - .actual_access:  read_only
        .address_space:  global
        .offset:         80
        .size:           8
        .value_kind:     global_buffer
      - .offset:         88
        .size:           4
        .value_kind:     by_value
      - .actual_access:  read_only
        .address_space:  global
        .offset:         96
        .size:           8
        .value_kind:     global_buffer
      - .actual_access:  read_only
        .address_space:  global
        .offset:         104
        .size:           8
        .value_kind:     global_buffer
      - .offset:         112
        .size:           4
        .value_kind:     by_value
      - .offset:         116
        .size:           4
        .value_kind:     by_value
    .group_segment_fixed_size: 8192
    .kernarg_segment_align: 8
    .kernarg_segment_size: 120
    .language:       OpenCL C
    .language_version:
      - 2
      - 0
    .max_flat_workgroup_size: 256
    .name:           r2c_even_post_transpose_tile16x16_dp_CI_CI_grid1D
    .private_segment_fixed_size: 0
    .sgpr_count:     38
    .sgpr_spill_count: 0
    .symbol:         r2c_even_post_transpose_tile16x16_dp_CI_CI_grid1D.kd
    .uniform_work_group_size: 1
    .uses_dynamic_stack: false
    .vgpr_count:     25
    .vgpr_spill_count: 0
    .wavefront_size: 32
    .workgroup_processor_mode: 1
amdhsa.target:   amdgcn-amd-amdhsa--gfx1201
amdhsa.version:
  - 1
  - 2
...

	.end_amdgpu_metadata
